;; amdgpu-corpus repo=zjin-lcf/HeCBench kind=compiled arch=gfx1250 opt=O3
	.amdgcn_target "amdgcn-amd-amdhsa--gfx1250"
	.amdhsa_code_object_version 6
	.section	.text._Z14Code1x16MatVecILj64EEvPK15HIP_vector_typeIiLj4EES3_PS1_S3_iiS1_i,"axG",@progbits,_Z14Code1x16MatVecILj64EEvPK15HIP_vector_typeIiLj4EES3_PS1_S3_iiS1_i,comdat
	.protected	_Z14Code1x16MatVecILj64EEvPK15HIP_vector_typeIiLj4EES3_PS1_S3_iiS1_i ; -- Begin function _Z14Code1x16MatVecILj64EEvPK15HIP_vector_typeIiLj4EES3_PS1_S3_iiS1_i
	.globl	_Z14Code1x16MatVecILj64EEvPK15HIP_vector_typeIiLj4EES3_PS1_S3_iiS1_i
	.p2align	8
	.type	_Z14Code1x16MatVecILj64EEvPK15HIP_vector_typeIiLj4EES3_PS1_S3_iiS1_i,@function
_Z14Code1x16MatVecILj64EEvPK15HIP_vector_typeIiLj4EES3_PS1_S3_iiS1_i: ; @_Z14Code1x16MatVecILj64EEvPK15HIP_vector_typeIiLj4EES3_PS1_S3_iiS1_i
; %bb.0:
	s_load_b128 s[4:7], s[0:1], 0x30
	s_bfe_u32 s13, ttmp6, 0x4000c
	s_and_b32 s15, ttmp6, 15
	s_add_co_i32 s13, s13, 1
	s_getreg_b32 s16, hwreg(HW_REG_IB_STS2, 6, 4)
	s_mul_i32 s13, ttmp9, s13
	v_lshrrev_b32_e32 v1, 6, v0
	s_add_co_i32 s15, s15, s13
	s_wait_kmcnt 0x0
	v_mov_b64_e32 v[2:3], s[4:5]
	v_mov_b64_e32 v[4:5], s[6:7]
	s_clause 0x1
	scratch_store_b128 off, v[2:5], off
	scratch_load_b32 v2, off, off
	s_clause 0x2
	s_load_b32 s14, s[0:1], 0x54
	s_load_b64 s[2:3], s[0:1], 0x20
	s_load_b256 s[4:11], s[0:1], 0x0
	s_wait_kmcnt 0x0
	s_bfe_u32 s12, s14, 0xa0006
	s_cmp_eq_u32 s16, 0
	s_cselect_b32 s13, ttmp9, s15
	s_mov_b32 s15, 0
	v_mad_u32 v1, s12, s13, v1
	s_delay_alu instid0(VALU_DEP_1) | instskip(SKIP_4) | instid1(SALU_CYCLE_1)
	v_cmp_gt_i32_e32 vcc_lo, s2, v1
	s_wait_loadcnt 0x0
	v_cmp_ge_i32_e64 s2, v1, v2
	v_mov_b64_e32 v[2:3], s[10:11]
	s_and_b32 s12, vcc_lo, s2
	s_and_saveexec_b32 s2, s12
	s_cbranch_execz .LBB0_4
; %bb.1:
	s_load_b32 s0, s[0:1], 0x40
	s_wait_kmcnt 0x0
	s_ashr_i32 s1, s0, 31
	s_delay_alu instid0(SALU_CYCLE_1)
	s_lshl_b64 s[12:13], s[0:1], 4
	s_or_b32 s1, 0, 4
.LBB0_2:                                ; =>This Inner Loop Header: Depth=1
	scratch_load_b32 v2, off, s1
	s_add_nc_u64 s[10:11], s[10:11], s[12:13]
	s_wait_xcnt 0x0
	s_add_co_i32 s1, s1, 4
	s_wait_loadcnt 0x0
	v_cmp_lt_i32_e64 s0, v1, v2
	v_mov_b64_e32 v[2:3], s[10:11]
	s_or_b32 s15, s0, s15
	s_delay_alu instid0(SALU_CYCLE_1)
	s_and_not1_b32 exec_lo, exec_lo, s15
	s_cbranch_execnz .LBB0_2
; %bb.3:
	s_or_b32 exec_lo, exec_lo, s15
.LBB0_4:
	s_delay_alu instid0(SALU_CYCLE_1)
	s_or_b32 exec_lo, exec_lo, s2
	s_ashr_i32 s0, s3, 31
	v_dual_mov_b32 v10, 0 :: v_dual_bitop2_b32 v6, 63, v0 bitop3:0x40
	s_lshr_b32 s1, s0, 29
	s_and_b32 s2, s14, 0xffff
	s_add_co_i32 s1, s3, s1
	s_delay_alu instid0(SALU_CYCLE_1) | instskip(NEXT) | instid1(SALU_CYCLE_1)
	s_ashr_i32 s10, s1, 3
	s_add_co_i32 s1, s10, 0x1ff
	s_delay_alu instid0(SALU_CYCLE_1)
	s_cmp_lt_u32 s1, 0x200
	s_cbranch_scc1 .LBB0_14
; %bb.5:
	s_lshr_b32 s0, s0, 26
	v_mul_u32_u24_e32 v7, 9, v6
	s_add_co_i32 s0, s3, s0
	v_mov_b32_e32 v5, 0
	s_ashr_i32 s3, s0, 6
	v_cmp_gt_u32_e64 s0, 0x200, v0
	v_mul_lo_u32 v4, v1, s3
	v_dual_mov_b32 v10, 0 :: v_dual_lshlrev_b32 v7, 4, v7
	s_mov_b32 s11, 0
	s_delay_alu instid0(VALU_DEP_2)
	v_dual_add_nc_u32 v8, s3, v4 :: v_dual_add_nc_u32 v9, v4, v6
	s_lshr_b32 s3, s1, 9
	s_branch .LBB0_7
.LBB0_6:                                ;   in Loop: Header=BB0_7 Depth=1
	s_or_b32 exec_lo, exec_lo, s1
	s_add_co_i32 s3, s3, -1
	s_addk_co_i32 s11, 0x200
	s_cmp_lg_u32 s3, 0
	s_cbranch_scc0 .LBB0_14
.LBB0_7:                                ; =>This Loop Header: Depth=1
                                        ;     Child Loop BB0_10 Depth 2
	s_wait_storecnt 0x0
	s_barrier_signal -1
	s_barrier_wait -1
	s_and_saveexec_b32 s12, s0
	s_cbranch_execz .LBB0_12
; %bb.8:                                ;   in Loop: Header=BB0_7 Depth=1
	v_mov_b32_e32 v4, v0
	s_mov_b32 s13, 0
	s_branch .LBB0_10
.LBB0_9:                                ;   in Loop: Header=BB0_10 Depth=2
	s_or_b32 exec_lo, exec_lo, s14
	v_add_nc_u32_e32 v4, s2, v4
	s_delay_alu instid0(VALU_DEP_1) | instskip(SKIP_1) | instid1(SALU_CYCLE_1)
	v_cmp_lt_u32_e64 s1, 0x1ff, v4
	s_or_b32 s13, s1, s13
	s_and_not1_b32 exec_lo, exec_lo, s13
	s_cbranch_execz .LBB0_12
.LBB0_10:                               ;   Parent Loop BB0_7 Depth=1
                                        ; =>  This Inner Loop Header: Depth=2
	s_delay_alu instid0(VALU_DEP_1) | instskip(SKIP_1) | instid1(VALU_DEP_1)
	v_add_nc_u32_e32 v11, s11, v4
	s_mov_b32 s14, exec_lo
	v_cmpx_gt_i32_e64 s10, v11
	s_cbranch_execz .LBB0_9
; %bb.11:                               ;   in Loop: Header=BB0_10 Depth=2
	global_load_b128 v[12:15], v11, s[6:7] scale_offset
	s_wait_xcnt 0x0
	v_dual_lshrrev_b32 v16, 3, v4 :: v_dual_bitop2_b32 v11, 7, v4 bitop3:0x40
	s_delay_alu instid0(VALU_DEP_1) | instskip(NEXT) | instid1(VALU_DEP_1)
	v_lshlrev_b32_e32 v11, 4, v11
	v_mad_i32_i24 v11, 0x90, v16, v11
	s_wait_loadcnt 0x0
	ds_store_b128 v11, v[12:15]
	s_branch .LBB0_9
.LBB0_12:                               ;   in Loop: Header=BB0_7 Depth=1
	s_or_b32 exec_lo, exec_lo, s12
	v_cmp_lt_i32_e64 s1, v9, v8
	s_wait_dscnt 0x0
	s_barrier_signal -1
	s_barrier_wait -1
	s_and_b32 s12, vcc_lo, s1
	s_delay_alu instid0(SALU_CYCLE_1)
	s_and_saveexec_b32 s1, s12
	s_cbranch_execz .LBB0_6
; %bb.13:                               ;   in Loop: Header=BB0_7 Depth=1
	global_load_b128 v[12:15], v9, s[4:5] scale_offset
	s_wait_xcnt 0x0
	v_add_nc_u32_e32 v9, 64, v9
	s_wait_loadcnt 0x0
	v_and_b32_e32 v4, 0xffff, v12
	v_and_b32_e32 v11, 0xffff, v13
	s_delay_alu instid0(VALU_DEP_2) | instskip(NEXT) | instid1(VALU_DEP_1)
	v_lshlrev_b32_e32 v4, 4, v4
	v_add_nc_u64_e32 v[16:17], v[2:3], v[4:5]
	v_lshrrev_b32_e32 v4, 12, v12
	s_delay_alu instid0(VALU_DEP_1) | instskip(SKIP_3) | instid1(VALU_DEP_1)
	v_and_b32_e32 v4, 0xffff0, v4
	global_load_b128 v[16:19], v[16:17], off
	v_add_nc_u64_e32 v[20:21], v[2:3], v[4:5]
	v_dual_lshlrev_b32 v4, 4, v11 :: v_dual_lshrrev_b32 v11, 12, v13
	v_add_nc_u64_e32 v[12:13], v[2:3], v[4:5]
	global_load_b128 v[20:23], v[20:21], off
	v_and_b32_e32 v4, 0xffff0, v11
	v_and_b32_e32 v11, 0xffff, v14
	global_load_b128 v[24:27], v[12:13], off
	s_wait_xcnt 0x0
	v_add_nc_u64_e32 v[12:13], v[2:3], v[4:5]
	v_dual_lshlrev_b32 v4, 4, v11 :: v_dual_lshrrev_b32 v11, 12, v14
	global_load_b128 v[28:31], v[12:13], off
	s_wait_xcnt 0x0
	v_add_nc_u64_e32 v[12:13], v[2:3], v[4:5]
	v_and_b32_e32 v4, 0xffff0, v11
	v_and_b32_e32 v11, 0xffff, v15
	s_delay_alu instid0(VALU_DEP_2) | instskip(NEXT) | instid1(VALU_DEP_2)
	v_add_nc_u64_e32 v[36:37], v[2:3], v[4:5]
	v_lshlrev_b32_e32 v4, 4, v11
	v_lshrrev_b32_e32 v11, 12, v15
	s_clause 0x1
	global_load_b128 v[32:35], v[12:13], off
	global_load_b128 v[12:15], v[36:37], off
	s_wait_xcnt 0x0
	v_add_nc_u64_e32 v[36:37], v[2:3], v[4:5]
	v_and_b32_e32 v4, 0xffff0, v11
	s_delay_alu instid0(VALU_DEP_1)
	v_add_nc_u64_e32 v[40:41], v[2:3], v[4:5]
	s_clause 0x1
	global_load_b128 v[36:39], v[36:37], off
	global_load_b128 v[40:43], v[40:41], off
	ds_load_b128 v[44:47], v7
	ds_load_b128 v[48:51], v7 offset:16
	ds_load_b128 v[52:55], v7 offset:32
	;; [unrolled: 1-line block ×3, first 2 shown]
	s_wait_loadcnt_dscnt 0x703
	v_pk_fma_f16 v4, v16, v44, 0
	s_delay_alu instid0(VALU_DEP_1) | instskip(NEXT) | instid1(VALU_DEP_1)
	v_pk_fma_f16 v4, v17, v45, v4
	v_pk_fma_f16 v4, v18, v46, v4
	s_wait_loadcnt_dscnt 0x602
	v_pk_fma_f16 v11, v20, v48, 0
	s_delay_alu instid0(VALU_DEP_2)
	v_pk_fma_f16 v4, v19, v47, v4
	ds_load_b128 v[16:19], v7 offset:64
	v_pk_fma_f16 v11, v21, v49, v11
	s_wait_loadcnt_dscnt 0x502
	v_pk_fma_f16 v20, v24, v52, 0
	ds_load_b128 v[44:47], v7 offset:80
	v_pk_fma_f16 v11, v22, v50, v11
	v_pk_fma_f16 v20, v25, v53, v20
	s_wait_loadcnt_dscnt 0x402
	v_pk_fma_f16 v24, v28, v56, 0
	s_delay_alu instid0(VALU_DEP_3) | instskip(NEXT) | instid1(VALU_DEP_3)
	v_pk_fma_f16 v11, v23, v51, v11
	v_pk_fma_f16 v25, v26, v54, v20
	ds_load_b128 v[20:23], v7 offset:96
	ds_load_b128 v[48:51], v7 offset:112
	v_lshrrev_b32_e32 v26, 16, v4
	v_pk_fma_f16 v24, v29, v57, v24
	v_cvt_f32_f16_e32 v4, v4
	v_pk_fma_f16 v25, v27, v55, v25
	v_cvt_f32_f16_e32 v27, v11
	v_cvt_f32_f16_e32 v26, v26
	s_wait_loadcnt_dscnt 0x303
	v_pk_fma_f16 v16, v32, v16, 0
	v_lshrrev_b32_e32 v11, 16, v11
	v_pk_fma_f16 v24, v30, v58, v24
	s_wait_loadcnt_dscnt 0x202
	v_pk_fma_f16 v12, v12, v44, 0
	v_pk_fma_f16 v16, v33, v17, v16
	v_cvt_f32_f16_e32 v11, v11
	v_add_f32_e32 v4, v26, v4
	v_cvt_f32_f16_e32 v17, v25
	v_lshrrev_b32_e32 v25, 16, v25
	v_pk_fma_f16 v24, v31, v59, v24
	v_pk_fma_f16 v16, v34, v18, v16
	;; [unrolled: 1-line block ×3, first 2 shown]
	s_wait_loadcnt_dscnt 0x101
	v_pk_fma_f16 v13, v36, v20, 0
	v_dual_add_f32 v4, v10, v4 :: v_dual_add_f32 v10, v11, v27
	v_cvt_f32_f16_e32 v11, v25
	v_lshrrev_b32_e32 v20, 16, v24
	v_pk_fma_f16 v16, v35, v19, v16
	v_pk_fma_f16 v12, v14, v46, v12
	v_pk_fma_f16 v13, v37, v21, v13
	s_wait_loadcnt_dscnt 0x0
	v_pk_fma_f16 v14, v40, v48, 0
	v_cvt_f32_f16_e32 v18, v24
	v_dual_add_f32 v4, v4, v10 :: v_dual_add_f32 v10, v11, v17
	v_cvt_f32_f16_e32 v11, v20
	v_cvt_f32_f16_e32 v17, v16
	v_lshrrev_b32_e32 v16, 16, v16
	v_pk_fma_f16 v12, v15, v47, v12
	v_pk_fma_f16 v13, v38, v22, v13
	v_pk_fma_f16 v14, v41, v49, v14
	v_add_f32_e32 v4, v4, v10
	s_delay_alu instid0(VALU_DEP_4)
	v_cvt_f32_f16_e32 v15, v12
	v_lshrrev_b32_e32 v12, 16, v12
	v_pk_fma_f16 v13, v39, v23, v13
	v_add_f32_e32 v10, v11, v18
	v_cvt_f32_f16_e32 v11, v16
	v_pk_fma_f16 v14, v42, v50, v14
	s_delay_alu instid0(VALU_DEP_2) | instskip(SKIP_2) | instid1(VALU_DEP_4)
	v_dual_add_f32 v4, v4, v10 :: v_dual_add_f32 v10, v11, v17
	v_cvt_f32_f16_e32 v11, v12
	v_lshrrev_b32_e32 v12, 16, v13
	v_pk_fma_f16 v14, v43, v51, v14
	v_cvt_f32_f16_e32 v13, v13
	s_delay_alu instid0(VALU_DEP_4) | instskip(NEXT) | instid1(VALU_DEP_4)
	v_dual_add_f32 v4, v4, v10 :: v_dual_add_f32 v10, v11, v15
	v_cvt_f32_f16_e32 v11, v12
	s_delay_alu instid0(VALU_DEP_4) | instskip(SKIP_1) | instid1(VALU_DEP_3)
	v_lshrrev_b32_e32 v12, 16, v14
	v_cvt_f32_f16_e32 v14, v14
	v_dual_add_f32 v4, v4, v10 :: v_dual_add_f32 v10, v11, v13
	s_delay_alu instid0(VALU_DEP_3) | instskip(NEXT) | instid1(VALU_DEP_2)
	v_cvt_f32_f16_e32 v11, v12
	v_add_f32_e32 v4, v4, v10
	s_delay_alu instid0(VALU_DEP_2) | instskip(NEXT) | instid1(VALU_DEP_1)
	v_add_f32_e32 v10, v11, v14
	v_add_f32_e32 v10, v4, v10
	s_branch .LBB0_6
.LBB0_14:
	s_and_saveexec_b32 s0, vcc_lo
	s_cbranch_execz .LBB0_17
; %bb.15:
	v_mbcnt_lo_u32_b32 v0, -1, 0
	s_delay_alu instid0(VALU_DEP_1) | instskip(SKIP_4) | instid1(VALU_DEP_2)
	v_lshlrev_b32_e32 v2, 2, v0
	v_cmp_gt_u32_e32 vcc_lo, 24, v0
	ds_bpermute_b32 v3, v2, v10
	v_cndmask_b32_e64 v4, 0, 8, vcc_lo
	v_cmp_gt_u32_e32 vcc_lo, 28, v0
	v_add_lshl_u32 v4, v4, v0, 2
	s_wait_dscnt 0x0
	v_dual_add_f32 v3, v10, v3 :: v_dual_bitop2_b32 v2, 64, v2 bitop3:0x54
	ds_bpermute_b32 v2, v2, v3
	s_wait_dscnt 0x0
	v_add_f32_e32 v2, v3, v2
	ds_bpermute_b32 v3, v4, v2
	v_cndmask_b32_e64 v4, 0, 4, vcc_lo
	v_cmp_gt_u32_e32 vcc_lo, 30, v0
	s_delay_alu instid0(VALU_DEP_2)
	v_add_lshl_u32 v4, v4, v0, 2
	s_wait_dscnt 0x0
	v_add_f32_e32 v2, v2, v3
	ds_bpermute_b32 v3, v4, v2
	v_cndmask_b32_e64 v4, 0, 2, vcc_lo
	v_cmp_ne_u32_e32 vcc_lo, 31, v0
	s_delay_alu instid0(VALU_DEP_2)
	v_add_lshl_u32 v4, v4, v0, 2
	s_wait_dscnt 0x0
	v_add_f32_e32 v2, v2, v3
	ds_bpermute_b32 v3, v4, v2
	v_add_co_ci_u32_e64 v4, null, 0, v0, vcc_lo
	v_cmp_eq_u32_e32 vcc_lo, 0, v6
	s_wait_dscnt 0x0
	s_delay_alu instid0(VALU_DEP_2)
	v_dual_add_f32 v0, v2, v3 :: v_dual_lshlrev_b32 v2, 2, v4
	ds_bpermute_b32 v2, v2, v0
	s_and_b32 exec_lo, exec_lo, vcc_lo
	s_cbranch_execz .LBB0_17
; %bb.16:
	s_wait_dscnt 0x0
	v_add_f32_e32 v0, v0, v2
	s_delay_alu instid0(VALU_DEP_1)
	v_cvt_f16_f32_e32 v0, v0
	global_store_b16 v1, v0, s[8:9] scale_offset
.LBB0_17:
	s_endpgm
	.section	.rodata,"a",@progbits
	.p2align	6, 0x0
	.amdhsa_kernel _Z14Code1x16MatVecILj64EEvPK15HIP_vector_typeIiLj4EES3_PS1_S3_iiS1_i
		.amdhsa_group_segment_fixed_size 9216
		.amdhsa_private_segment_fixed_size 32
		.amdhsa_kernarg_size 328
		.amdhsa_user_sgpr_count 2
		.amdhsa_user_sgpr_dispatch_ptr 0
		.amdhsa_user_sgpr_queue_ptr 0
		.amdhsa_user_sgpr_kernarg_segment_ptr 1
		.amdhsa_user_sgpr_dispatch_id 0
		.amdhsa_user_sgpr_kernarg_preload_length 0
		.amdhsa_user_sgpr_kernarg_preload_offset 0
		.amdhsa_user_sgpr_private_segment_size 0
		.amdhsa_wavefront_size32 1
		.amdhsa_uses_dynamic_stack 0
		.amdhsa_enable_private_segment 1
		.amdhsa_system_sgpr_workgroup_id_x 1
		.amdhsa_system_sgpr_workgroup_id_y 0
		.amdhsa_system_sgpr_workgroup_id_z 0
		.amdhsa_system_sgpr_workgroup_info 0
		.amdhsa_system_vgpr_workitem_id 0
		.amdhsa_next_free_vgpr 60
		.amdhsa_next_free_sgpr 17
		.amdhsa_named_barrier_count 0
		.amdhsa_reserve_vcc 1
		.amdhsa_float_round_mode_32 0
		.amdhsa_float_round_mode_16_64 0
		.amdhsa_float_denorm_mode_32 3
		.amdhsa_float_denorm_mode_16_64 3
		.amdhsa_fp16_overflow 0
		.amdhsa_memory_ordered 1
		.amdhsa_forward_progress 1
		.amdhsa_inst_pref_size 14
		.amdhsa_round_robin_scheduling 0
		.amdhsa_exception_fp_ieee_invalid_op 0
		.amdhsa_exception_fp_denorm_src 0
		.amdhsa_exception_fp_ieee_div_zero 0
		.amdhsa_exception_fp_ieee_overflow 0
		.amdhsa_exception_fp_ieee_underflow 0
		.amdhsa_exception_fp_ieee_inexact 0
		.amdhsa_exception_int_div_zero 0
	.end_amdhsa_kernel
	.section	.text._Z14Code1x16MatVecILj64EEvPK15HIP_vector_typeIiLj4EES3_PS1_S3_iiS1_i,"axG",@progbits,_Z14Code1x16MatVecILj64EEvPK15HIP_vector_typeIiLj4EES3_PS1_S3_iiS1_i,comdat
.Lfunc_end0:
	.size	_Z14Code1x16MatVecILj64EEvPK15HIP_vector_typeIiLj4EES3_PS1_S3_iiS1_i, .Lfunc_end0-_Z14Code1x16MatVecILj64EEvPK15HIP_vector_typeIiLj4EES3_PS1_S3_iiS1_i
                                        ; -- End function
	.set _Z14Code1x16MatVecILj64EEvPK15HIP_vector_typeIiLj4EES3_PS1_S3_iiS1_i.num_vgpr, 60
	.set _Z14Code1x16MatVecILj64EEvPK15HIP_vector_typeIiLj4EES3_PS1_S3_iiS1_i.num_agpr, 0
	.set _Z14Code1x16MatVecILj64EEvPK15HIP_vector_typeIiLj4EES3_PS1_S3_iiS1_i.numbered_sgpr, 17
	.set _Z14Code1x16MatVecILj64EEvPK15HIP_vector_typeIiLj4EES3_PS1_S3_iiS1_i.num_named_barrier, 0
	.set _Z14Code1x16MatVecILj64EEvPK15HIP_vector_typeIiLj4EES3_PS1_S3_iiS1_i.private_seg_size, 32
	.set _Z14Code1x16MatVecILj64EEvPK15HIP_vector_typeIiLj4EES3_PS1_S3_iiS1_i.uses_vcc, 1
	.set _Z14Code1x16MatVecILj64EEvPK15HIP_vector_typeIiLj4EES3_PS1_S3_iiS1_i.uses_flat_scratch, 1
	.set _Z14Code1x16MatVecILj64EEvPK15HIP_vector_typeIiLj4EES3_PS1_S3_iiS1_i.has_dyn_sized_stack, 0
	.set _Z14Code1x16MatVecILj64EEvPK15HIP_vector_typeIiLj4EES3_PS1_S3_iiS1_i.has_recursion, 0
	.set _Z14Code1x16MatVecILj64EEvPK15HIP_vector_typeIiLj4EES3_PS1_S3_iiS1_i.has_indirect_call, 0
	.section	.AMDGPU.csdata,"",@progbits
; Kernel info:
; codeLenInByte = 1748
; TotalNumSgprs: 19
; NumVgprs: 60
; ScratchSize: 32
; MemoryBound: 0
; FloatMode: 240
; IeeeMode: 1
; LDSByteSize: 9216 bytes/workgroup (compile time only)
; SGPRBlocks: 0
; VGPRBlocks: 3
; NumSGPRsForWavesPerEU: 19
; NumVGPRsForWavesPerEU: 60
; NamedBarCnt: 0
; Occupancy: 16
; WaveLimiterHint : 1
; COMPUTE_PGM_RSRC2:SCRATCH_EN: 1
; COMPUTE_PGM_RSRC2:USER_SGPR: 2
; COMPUTE_PGM_RSRC2:TRAP_HANDLER: 0
; COMPUTE_PGM_RSRC2:TGID_X_EN: 1
; COMPUTE_PGM_RSRC2:TGID_Y_EN: 0
; COMPUTE_PGM_RSRC2:TGID_Z_EN: 0
; COMPUTE_PGM_RSRC2:TIDIG_COMP_CNT: 0
	.section	.text._Z14Code1x16MatVecILj32EEvPK15HIP_vector_typeIiLj4EES3_PS1_S3_iiS1_i,"axG",@progbits,_Z14Code1x16MatVecILj32EEvPK15HIP_vector_typeIiLj4EES3_PS1_S3_iiS1_i,comdat
	.protected	_Z14Code1x16MatVecILj32EEvPK15HIP_vector_typeIiLj4EES3_PS1_S3_iiS1_i ; -- Begin function _Z14Code1x16MatVecILj32EEvPK15HIP_vector_typeIiLj4EES3_PS1_S3_iiS1_i
	.globl	_Z14Code1x16MatVecILj32EEvPK15HIP_vector_typeIiLj4EES3_PS1_S3_iiS1_i
	.p2align	8
	.type	_Z14Code1x16MatVecILj32EEvPK15HIP_vector_typeIiLj4EES3_PS1_S3_iiS1_i,@function
_Z14Code1x16MatVecILj32EEvPK15HIP_vector_typeIiLj4EES3_PS1_S3_iiS1_i: ; @_Z14Code1x16MatVecILj32EEvPK15HIP_vector_typeIiLj4EES3_PS1_S3_iiS1_i
; %bb.0:
	s_load_b128 s[4:7], s[0:1], 0x30
	s_bfe_u32 s13, ttmp6, 0x4000c
	s_and_b32 s15, ttmp6, 15
	s_add_co_i32 s13, s13, 1
	s_getreg_b32 s16, hwreg(HW_REG_IB_STS2, 6, 4)
	s_mul_i32 s13, ttmp9, s13
	v_lshrrev_b32_e32 v1, 5, v0
	s_add_co_i32 s15, s15, s13
	s_wait_kmcnt 0x0
	v_mov_b64_e32 v[2:3], s[4:5]
	v_mov_b64_e32 v[4:5], s[6:7]
	s_clause 0x1
	scratch_store_b128 off, v[2:5], off
	scratch_load_b32 v2, off, off
	s_clause 0x2
	s_load_b32 s14, s[0:1], 0x54
	s_load_b64 s[2:3], s[0:1], 0x20
	s_load_b256 s[4:11], s[0:1], 0x0
	s_wait_kmcnt 0x0
	s_bfe_u32 s12, s14, 0xb0005
	s_cmp_eq_u32 s16, 0
	s_cselect_b32 s13, ttmp9, s15
	s_mov_b32 s15, 0
	v_mad_u32 v1, s12, s13, v1
	s_delay_alu instid0(VALU_DEP_1) | instskip(SKIP_4) | instid1(SALU_CYCLE_1)
	v_cmp_gt_i32_e32 vcc_lo, s2, v1
	s_wait_loadcnt 0x0
	v_cmp_ge_i32_e64 s2, v1, v2
	v_mov_b64_e32 v[2:3], s[10:11]
	s_and_b32 s12, vcc_lo, s2
	s_and_saveexec_b32 s2, s12
	s_cbranch_execz .LBB1_4
; %bb.1:
	s_load_b32 s0, s[0:1], 0x40
	s_wait_kmcnt 0x0
	s_ashr_i32 s1, s0, 31
	s_delay_alu instid0(SALU_CYCLE_1)
	s_lshl_b64 s[12:13], s[0:1], 4
	s_or_b32 s1, 0, 4
.LBB1_2:                                ; =>This Inner Loop Header: Depth=1
	scratch_load_b32 v2, off, s1
	s_add_nc_u64 s[10:11], s[10:11], s[12:13]
	s_wait_xcnt 0x0
	s_add_co_i32 s1, s1, 4
	s_wait_loadcnt 0x0
	v_cmp_lt_i32_e64 s0, v1, v2
	v_mov_b64_e32 v[2:3], s[10:11]
	s_or_b32 s15, s0, s15
	s_delay_alu instid0(SALU_CYCLE_1)
	s_and_not1_b32 exec_lo, exec_lo, s15
	s_cbranch_execnz .LBB1_2
; %bb.3:
	s_or_b32 exec_lo, exec_lo, s15
.LBB1_4:
	s_delay_alu instid0(SALU_CYCLE_1)
	s_or_b32 exec_lo, exec_lo, s2
	s_ashr_i32 s0, s3, 31
	v_dual_mov_b32 v10, 0 :: v_dual_bitop2_b32 v6, 31, v0 bitop3:0x40
	s_lshr_b32 s1, s0, 29
	s_and_b32 s2, s14, 0xffff
	s_add_co_i32 s1, s3, s1
	s_delay_alu instid0(SALU_CYCLE_1) | instskip(NEXT) | instid1(SALU_CYCLE_1)
	s_ashr_i32 s10, s1, 3
	s_add_co_i32 s1, s10, 0xff
	s_delay_alu instid0(SALU_CYCLE_1)
	s_cmp_lt_u32 s1, 0x100
	s_cbranch_scc1 .LBB1_14
; %bb.5:
	s_lshr_b32 s0, s0, 26
	v_mul_u32_u24_e32 v7, 9, v6
	s_add_co_i32 s0, s3, s0
	v_mov_b32_e32 v5, 0
	s_ashr_i32 s3, s0, 6
	v_cmp_gt_u32_e64 s0, 0x100, v0
	v_mul_lo_u32 v4, v1, s3
	v_dual_mov_b32 v10, 0 :: v_dual_lshlrev_b32 v7, 4, v7
	s_mov_b32 s11, 0
	s_delay_alu instid0(VALU_DEP_2)
	v_dual_add_nc_u32 v8, s3, v4 :: v_dual_add_nc_u32 v9, v4, v6
	s_lshr_b32 s3, s1, 8
	s_branch .LBB1_7
.LBB1_6:                                ;   in Loop: Header=BB1_7 Depth=1
	s_or_b32 exec_lo, exec_lo, s1
	s_add_co_i32 s3, s3, -1
	s_addk_co_i32 s11, 0x100
	s_cmp_lg_u32 s3, 0
	s_cbranch_scc0 .LBB1_14
.LBB1_7:                                ; =>This Loop Header: Depth=1
                                        ;     Child Loop BB1_10 Depth 2
	s_wait_storecnt 0x0
	s_barrier_signal -1
	s_barrier_wait -1
	s_and_saveexec_b32 s12, s0
	s_cbranch_execz .LBB1_12
; %bb.8:                                ;   in Loop: Header=BB1_7 Depth=1
	v_mov_b32_e32 v4, v0
	s_mov_b32 s13, 0
	s_branch .LBB1_10
.LBB1_9:                                ;   in Loop: Header=BB1_10 Depth=2
	s_or_b32 exec_lo, exec_lo, s14
	v_add_nc_u32_e32 v4, s2, v4
	s_delay_alu instid0(VALU_DEP_1) | instskip(SKIP_1) | instid1(SALU_CYCLE_1)
	v_cmp_lt_u32_e64 s1, 0xff, v4
	s_or_b32 s13, s1, s13
	s_and_not1_b32 exec_lo, exec_lo, s13
	s_cbranch_execz .LBB1_12
.LBB1_10:                               ;   Parent Loop BB1_7 Depth=1
                                        ; =>  This Inner Loop Header: Depth=2
	s_delay_alu instid0(VALU_DEP_1) | instskip(SKIP_1) | instid1(VALU_DEP_1)
	v_add_nc_u32_e32 v11, s11, v4
	s_mov_b32 s14, exec_lo
	v_cmpx_gt_i32_e64 s10, v11
	s_cbranch_execz .LBB1_9
; %bb.11:                               ;   in Loop: Header=BB1_10 Depth=2
	global_load_b128 v[12:15], v11, s[6:7] scale_offset
	s_wait_xcnt 0x0
	v_dual_lshrrev_b32 v16, 3, v4 :: v_dual_bitop2_b32 v11, 7, v4 bitop3:0x40
	s_delay_alu instid0(VALU_DEP_1) | instskip(NEXT) | instid1(VALU_DEP_1)
	v_lshlrev_b32_e32 v11, 4, v11
	v_mad_i32_i24 v11, 0x90, v16, v11
	s_wait_loadcnt 0x0
	ds_store_b128 v11, v[12:15]
	s_branch .LBB1_9
.LBB1_12:                               ;   in Loop: Header=BB1_7 Depth=1
	s_or_b32 exec_lo, exec_lo, s12
	v_cmp_lt_i32_e64 s1, v9, v8
	s_wait_dscnt 0x0
	s_barrier_signal -1
	s_barrier_wait -1
	s_and_b32 s12, vcc_lo, s1
	s_delay_alu instid0(SALU_CYCLE_1)
	s_and_saveexec_b32 s1, s12
	s_cbranch_execz .LBB1_6
; %bb.13:                               ;   in Loop: Header=BB1_7 Depth=1
	global_load_b128 v[12:15], v9, s[4:5] scale_offset
	s_wait_xcnt 0x0
	v_add_nc_u32_e32 v9, 32, v9
	s_wait_loadcnt 0x0
	v_and_b32_e32 v4, 0xffff, v12
	v_and_b32_e32 v11, 0xffff, v13
	s_delay_alu instid0(VALU_DEP_2) | instskip(NEXT) | instid1(VALU_DEP_1)
	v_lshlrev_b32_e32 v4, 4, v4
	v_add_nc_u64_e32 v[16:17], v[2:3], v[4:5]
	v_lshrrev_b32_e32 v4, 12, v12
	s_delay_alu instid0(VALU_DEP_1) | instskip(SKIP_3) | instid1(VALU_DEP_1)
	v_and_b32_e32 v4, 0xffff0, v4
	global_load_b128 v[16:19], v[16:17], off
	v_add_nc_u64_e32 v[20:21], v[2:3], v[4:5]
	v_dual_lshlrev_b32 v4, 4, v11 :: v_dual_lshrrev_b32 v11, 12, v13
	v_add_nc_u64_e32 v[12:13], v[2:3], v[4:5]
	global_load_b128 v[20:23], v[20:21], off
	v_and_b32_e32 v4, 0xffff0, v11
	v_and_b32_e32 v11, 0xffff, v14
	global_load_b128 v[24:27], v[12:13], off
	s_wait_xcnt 0x0
	v_add_nc_u64_e32 v[12:13], v[2:3], v[4:5]
	v_dual_lshlrev_b32 v4, 4, v11 :: v_dual_lshrrev_b32 v11, 12, v14
	global_load_b128 v[28:31], v[12:13], off
	s_wait_xcnt 0x0
	v_add_nc_u64_e32 v[12:13], v[2:3], v[4:5]
	v_and_b32_e32 v4, 0xffff0, v11
	v_and_b32_e32 v11, 0xffff, v15
	s_delay_alu instid0(VALU_DEP_2) | instskip(NEXT) | instid1(VALU_DEP_2)
	v_add_nc_u64_e32 v[36:37], v[2:3], v[4:5]
	v_lshlrev_b32_e32 v4, 4, v11
	v_lshrrev_b32_e32 v11, 12, v15
	s_clause 0x1
	global_load_b128 v[32:35], v[12:13], off
	global_load_b128 v[12:15], v[36:37], off
	s_wait_xcnt 0x0
	v_add_nc_u64_e32 v[36:37], v[2:3], v[4:5]
	v_and_b32_e32 v4, 0xffff0, v11
	s_delay_alu instid0(VALU_DEP_1)
	v_add_nc_u64_e32 v[40:41], v[2:3], v[4:5]
	s_clause 0x1
	global_load_b128 v[36:39], v[36:37], off
	global_load_b128 v[40:43], v[40:41], off
	ds_load_b128 v[44:47], v7
	ds_load_b128 v[48:51], v7 offset:16
	ds_load_b128 v[52:55], v7 offset:32
	;; [unrolled: 1-line block ×3, first 2 shown]
	s_wait_loadcnt_dscnt 0x703
	v_pk_fma_f16 v4, v16, v44, 0
	s_delay_alu instid0(VALU_DEP_1) | instskip(NEXT) | instid1(VALU_DEP_1)
	v_pk_fma_f16 v4, v17, v45, v4
	v_pk_fma_f16 v4, v18, v46, v4
	s_wait_loadcnt_dscnt 0x602
	v_pk_fma_f16 v11, v20, v48, 0
	s_delay_alu instid0(VALU_DEP_2)
	v_pk_fma_f16 v4, v19, v47, v4
	ds_load_b128 v[16:19], v7 offset:64
	v_pk_fma_f16 v11, v21, v49, v11
	s_wait_loadcnt_dscnt 0x502
	v_pk_fma_f16 v20, v24, v52, 0
	ds_load_b128 v[44:47], v7 offset:80
	v_pk_fma_f16 v11, v22, v50, v11
	v_pk_fma_f16 v20, v25, v53, v20
	s_wait_loadcnt_dscnt 0x402
	v_pk_fma_f16 v24, v28, v56, 0
	s_delay_alu instid0(VALU_DEP_3) | instskip(NEXT) | instid1(VALU_DEP_3)
	v_pk_fma_f16 v11, v23, v51, v11
	v_pk_fma_f16 v25, v26, v54, v20
	ds_load_b128 v[20:23], v7 offset:96
	ds_load_b128 v[48:51], v7 offset:112
	v_lshrrev_b32_e32 v26, 16, v4
	v_pk_fma_f16 v24, v29, v57, v24
	v_cvt_f32_f16_e32 v4, v4
	v_pk_fma_f16 v25, v27, v55, v25
	v_cvt_f32_f16_e32 v27, v11
	v_cvt_f32_f16_e32 v26, v26
	s_wait_loadcnt_dscnt 0x303
	v_pk_fma_f16 v16, v32, v16, 0
	v_lshrrev_b32_e32 v11, 16, v11
	v_pk_fma_f16 v24, v30, v58, v24
	s_wait_loadcnt_dscnt 0x202
	v_pk_fma_f16 v12, v12, v44, 0
	v_pk_fma_f16 v16, v33, v17, v16
	v_cvt_f32_f16_e32 v11, v11
	v_add_f32_e32 v4, v26, v4
	v_cvt_f32_f16_e32 v17, v25
	v_lshrrev_b32_e32 v25, 16, v25
	v_pk_fma_f16 v24, v31, v59, v24
	v_pk_fma_f16 v16, v34, v18, v16
	;; [unrolled: 1-line block ×3, first 2 shown]
	s_wait_loadcnt_dscnt 0x101
	v_pk_fma_f16 v13, v36, v20, 0
	v_dual_add_f32 v4, v10, v4 :: v_dual_add_f32 v10, v11, v27
	v_cvt_f32_f16_e32 v11, v25
	v_lshrrev_b32_e32 v20, 16, v24
	v_pk_fma_f16 v16, v35, v19, v16
	v_pk_fma_f16 v12, v14, v46, v12
	;; [unrolled: 1-line block ×3, first 2 shown]
	s_wait_loadcnt_dscnt 0x0
	v_pk_fma_f16 v14, v40, v48, 0
	v_cvt_f32_f16_e32 v18, v24
	v_dual_add_f32 v4, v4, v10 :: v_dual_add_f32 v10, v11, v17
	v_cvt_f32_f16_e32 v11, v20
	v_cvt_f32_f16_e32 v17, v16
	v_lshrrev_b32_e32 v16, 16, v16
	v_pk_fma_f16 v12, v15, v47, v12
	v_pk_fma_f16 v13, v38, v22, v13
	;; [unrolled: 1-line block ×3, first 2 shown]
	v_add_f32_e32 v4, v4, v10
	s_delay_alu instid0(VALU_DEP_4)
	v_cvt_f32_f16_e32 v15, v12
	v_lshrrev_b32_e32 v12, 16, v12
	v_pk_fma_f16 v13, v39, v23, v13
	v_add_f32_e32 v10, v11, v18
	v_cvt_f32_f16_e32 v11, v16
	v_pk_fma_f16 v14, v42, v50, v14
	s_delay_alu instid0(VALU_DEP_2) | instskip(SKIP_2) | instid1(VALU_DEP_4)
	v_dual_add_f32 v4, v4, v10 :: v_dual_add_f32 v10, v11, v17
	v_cvt_f32_f16_e32 v11, v12
	v_lshrrev_b32_e32 v12, 16, v13
	v_pk_fma_f16 v14, v43, v51, v14
	v_cvt_f32_f16_e32 v13, v13
	s_delay_alu instid0(VALU_DEP_4) | instskip(NEXT) | instid1(VALU_DEP_4)
	v_dual_add_f32 v4, v4, v10 :: v_dual_add_f32 v10, v11, v15
	v_cvt_f32_f16_e32 v11, v12
	s_delay_alu instid0(VALU_DEP_4) | instskip(SKIP_1) | instid1(VALU_DEP_3)
	v_lshrrev_b32_e32 v12, 16, v14
	v_cvt_f32_f16_e32 v14, v14
	v_dual_add_f32 v4, v4, v10 :: v_dual_add_f32 v10, v11, v13
	s_delay_alu instid0(VALU_DEP_3) | instskip(NEXT) | instid1(VALU_DEP_2)
	v_cvt_f32_f16_e32 v11, v12
	v_add_f32_e32 v4, v4, v10
	s_delay_alu instid0(VALU_DEP_2) | instskip(NEXT) | instid1(VALU_DEP_1)
	v_add_f32_e32 v10, v11, v14
	v_add_f32_e32 v10, v4, v10
	s_branch .LBB1_6
.LBB1_14:
	s_and_saveexec_b32 s0, vcc_lo
	s_cbranch_execz .LBB1_17
; %bb.15:
	v_mbcnt_lo_u32_b32 v0, -1, 0
	s_delay_alu instid0(VALU_DEP_1) | instskip(SKIP_4) | instid1(VALU_DEP_2)
	v_lshl_or_b32 v2, v0, 2, 64
	v_cmp_gt_u32_e32 vcc_lo, 24, v0
	ds_bpermute_b32 v2, v2, v10
	v_cndmask_b32_e64 v3, 0, 8, vcc_lo
	v_cmp_gt_u32_e32 vcc_lo, 28, v0
	v_add_lshl_u32 v3, v3, v0, 2
	v_cndmask_b32_e64 v4, 0, 4, vcc_lo
	v_cmp_gt_u32_e32 vcc_lo, 30, v0
	s_delay_alu instid0(VALU_DEP_2)
	v_add_lshl_u32 v4, v4, v0, 2
	s_wait_dscnt 0x0
	v_add_f32_e32 v2, v10, v2
	ds_bpermute_b32 v3, v3, v2
	s_wait_dscnt 0x0
	v_add_f32_e32 v2, v2, v3
	ds_bpermute_b32 v3, v4, v2
	v_cndmask_b32_e64 v4, 0, 2, vcc_lo
	v_cmp_ne_u32_e32 vcc_lo, 31, v0
	s_delay_alu instid0(VALU_DEP_2)
	v_add_lshl_u32 v4, v4, v0, 2
	s_wait_dscnt 0x0
	v_add_f32_e32 v2, v2, v3
	ds_bpermute_b32 v3, v4, v2
	v_add_co_ci_u32_e64 v4, null, 0, v0, vcc_lo
	v_cmp_eq_u32_e32 vcc_lo, 0, v6
	s_wait_dscnt 0x0
	s_delay_alu instid0(VALU_DEP_2)
	v_dual_add_f32 v0, v2, v3 :: v_dual_lshlrev_b32 v2, 2, v4
	ds_bpermute_b32 v2, v2, v0
	s_and_b32 exec_lo, exec_lo, vcc_lo
	s_cbranch_execz .LBB1_17
; %bb.16:
	s_wait_dscnt 0x0
	v_add_f32_e32 v0, v0, v2
	s_delay_alu instid0(VALU_DEP_1)
	v_cvt_f16_f32_e32 v0, v0
	global_store_b16 v1, v0, s[8:9] scale_offset
.LBB1_17:
	s_endpgm
	.section	.rodata,"a",@progbits
	.p2align	6, 0x0
	.amdhsa_kernel _Z14Code1x16MatVecILj32EEvPK15HIP_vector_typeIiLj4EES3_PS1_S3_iiS1_i
		.amdhsa_group_segment_fixed_size 4608
		.amdhsa_private_segment_fixed_size 32
		.amdhsa_kernarg_size 328
		.amdhsa_user_sgpr_count 2
		.amdhsa_user_sgpr_dispatch_ptr 0
		.amdhsa_user_sgpr_queue_ptr 0
		.amdhsa_user_sgpr_kernarg_segment_ptr 1
		.amdhsa_user_sgpr_dispatch_id 0
		.amdhsa_user_sgpr_kernarg_preload_length 0
		.amdhsa_user_sgpr_kernarg_preload_offset 0
		.amdhsa_user_sgpr_private_segment_size 0
		.amdhsa_wavefront_size32 1
		.amdhsa_uses_dynamic_stack 0
		.amdhsa_enable_private_segment 1
		.amdhsa_system_sgpr_workgroup_id_x 1
		.amdhsa_system_sgpr_workgroup_id_y 0
		.amdhsa_system_sgpr_workgroup_id_z 0
		.amdhsa_system_sgpr_workgroup_info 0
		.amdhsa_system_vgpr_workitem_id 0
		.amdhsa_next_free_vgpr 60
		.amdhsa_next_free_sgpr 17
		.amdhsa_named_barrier_count 0
		.amdhsa_reserve_vcc 1
		.amdhsa_float_round_mode_32 0
		.amdhsa_float_round_mode_16_64 0
		.amdhsa_float_denorm_mode_32 3
		.amdhsa_float_denorm_mode_16_64 3
		.amdhsa_fp16_overflow 0
		.amdhsa_memory_ordered 1
		.amdhsa_forward_progress 1
		.amdhsa_inst_pref_size 14
		.amdhsa_round_robin_scheduling 0
		.amdhsa_exception_fp_ieee_invalid_op 0
		.amdhsa_exception_fp_denorm_src 0
		.amdhsa_exception_fp_ieee_div_zero 0
		.amdhsa_exception_fp_ieee_overflow 0
		.amdhsa_exception_fp_ieee_underflow 0
		.amdhsa_exception_fp_ieee_inexact 0
		.amdhsa_exception_int_div_zero 0
	.end_amdhsa_kernel
	.section	.text._Z14Code1x16MatVecILj32EEvPK15HIP_vector_typeIiLj4EES3_PS1_S3_iiS1_i,"axG",@progbits,_Z14Code1x16MatVecILj32EEvPK15HIP_vector_typeIiLj4EES3_PS1_S3_iiS1_i,comdat
.Lfunc_end1:
	.size	_Z14Code1x16MatVecILj32EEvPK15HIP_vector_typeIiLj4EES3_PS1_S3_iiS1_i, .Lfunc_end1-_Z14Code1x16MatVecILj32EEvPK15HIP_vector_typeIiLj4EES3_PS1_S3_iiS1_i
                                        ; -- End function
	.set _Z14Code1x16MatVecILj32EEvPK15HIP_vector_typeIiLj4EES3_PS1_S3_iiS1_i.num_vgpr, 60
	.set _Z14Code1x16MatVecILj32EEvPK15HIP_vector_typeIiLj4EES3_PS1_S3_iiS1_i.num_agpr, 0
	.set _Z14Code1x16MatVecILj32EEvPK15HIP_vector_typeIiLj4EES3_PS1_S3_iiS1_i.numbered_sgpr, 17
	.set _Z14Code1x16MatVecILj32EEvPK15HIP_vector_typeIiLj4EES3_PS1_S3_iiS1_i.num_named_barrier, 0
	.set _Z14Code1x16MatVecILj32EEvPK15HIP_vector_typeIiLj4EES3_PS1_S3_iiS1_i.private_seg_size, 32
	.set _Z14Code1x16MatVecILj32EEvPK15HIP_vector_typeIiLj4EES3_PS1_S3_iiS1_i.uses_vcc, 1
	.set _Z14Code1x16MatVecILj32EEvPK15HIP_vector_typeIiLj4EES3_PS1_S3_iiS1_i.uses_flat_scratch, 1
	.set _Z14Code1x16MatVecILj32EEvPK15HIP_vector_typeIiLj4EES3_PS1_S3_iiS1_i.has_dyn_sized_stack, 0
	.set _Z14Code1x16MatVecILj32EEvPK15HIP_vector_typeIiLj4EES3_PS1_S3_iiS1_i.has_recursion, 0
	.set _Z14Code1x16MatVecILj32EEvPK15HIP_vector_typeIiLj4EES3_PS1_S3_iiS1_i.has_indirect_call, 0
	.section	.AMDGPU.csdata,"",@progbits
; Kernel info:
; codeLenInByte = 1728
; TotalNumSgprs: 19
; NumVgprs: 60
; ScratchSize: 32
; MemoryBound: 0
; FloatMode: 240
; IeeeMode: 1
; LDSByteSize: 4608 bytes/workgroup (compile time only)
; SGPRBlocks: 0
; VGPRBlocks: 3
; NumSGPRsForWavesPerEU: 19
; NumVGPRsForWavesPerEU: 60
; NamedBarCnt: 0
; Occupancy: 16
; WaveLimiterHint : 1
; COMPUTE_PGM_RSRC2:SCRATCH_EN: 1
; COMPUTE_PGM_RSRC2:USER_SGPR: 2
; COMPUTE_PGM_RSRC2:TRAP_HANDLER: 0
; COMPUTE_PGM_RSRC2:TGID_X_EN: 1
; COMPUTE_PGM_RSRC2:TGID_Y_EN: 0
; COMPUTE_PGM_RSRC2:TGID_Z_EN: 0
; COMPUTE_PGM_RSRC2:TIDIG_COMP_CNT: 0
	.section	.AMDGPU.gpr_maximums,"",@progbits
	.set amdgpu.max_num_vgpr, 0
	.set amdgpu.max_num_agpr, 0
	.set amdgpu.max_num_sgpr, 0
	.section	.AMDGPU.csdata,"",@progbits
	.type	__hip_cuid_604442bbc14f82b,@object ; @__hip_cuid_604442bbc14f82b
	.section	.bss,"aw",@nobits
	.globl	__hip_cuid_604442bbc14f82b
__hip_cuid_604442bbc14f82b:
	.byte	0                               ; 0x0
	.size	__hip_cuid_604442bbc14f82b, 1

	.ident	"AMD clang version 22.0.0git (https://github.com/RadeonOpenCompute/llvm-project roc-7.2.4 26084 f58b06dce1f9c15707c5f808fd002e18c2accf7e)"
	.section	".note.GNU-stack","",@progbits
	.addrsig
	.addrsig_sym __hip_cuid_604442bbc14f82b
	.amdgpu_metadata
---
amdhsa.kernels:
  - .args:
      - .actual_access:  read_only
        .address_space:  global
        .offset:         0
        .size:           8
        .value_kind:     global_buffer
      - .actual_access:  read_only
        .address_space:  global
        .offset:         8
        .size:           8
        .value_kind:     global_buffer
      - .actual_access:  write_only
        .address_space:  global
        .offset:         16
        .size:           8
        .value_kind:     global_buffer
      - .actual_access:  read_only
        .address_space:  global
        .offset:         24
        .size:           8
        .value_kind:     global_buffer
      - .offset:         32
        .size:           4
        .value_kind:     by_value
      - .offset:         36
        .size:           4
        .value_kind:     by_value
      - .offset:         48
        .size:           16
        .value_kind:     by_value
      - .offset:         64
        .size:           4
        .value_kind:     by_value
      - .offset:         72
        .size:           4
        .value_kind:     hidden_block_count_x
      - .offset:         76
        .size:           4
        .value_kind:     hidden_block_count_y
      - .offset:         80
        .size:           4
        .value_kind:     hidden_block_count_z
      - .offset:         84
        .size:           2
        .value_kind:     hidden_group_size_x
      - .offset:         86
        .size:           2
        .value_kind:     hidden_group_size_y
      - .offset:         88
        .size:           2
        .value_kind:     hidden_group_size_z
      - .offset:         90
        .size:           2
        .value_kind:     hidden_remainder_x
      - .offset:         92
        .size:           2
        .value_kind:     hidden_remainder_y
      - .offset:         94
        .size:           2
        .value_kind:     hidden_remainder_z
      - .offset:         112
        .size:           8
        .value_kind:     hidden_global_offset_x
      - .offset:         120
        .size:           8
        .value_kind:     hidden_global_offset_y
      - .offset:         128
        .size:           8
        .value_kind:     hidden_global_offset_z
      - .offset:         136
        .size:           2
        .value_kind:     hidden_grid_dims
    .group_segment_fixed_size: 9216
    .kernarg_segment_align: 16
    .kernarg_segment_size: 328
    .language:       OpenCL C
    .language_version:
      - 2
      - 0
    .max_flat_workgroup_size: 1024
    .name:           _Z14Code1x16MatVecILj64EEvPK15HIP_vector_typeIiLj4EES3_PS1_S3_iiS1_i
    .private_segment_fixed_size: 32
    .sgpr_count:     19
    .sgpr_spill_count: 0
    .symbol:         _Z14Code1x16MatVecILj64EEvPK15HIP_vector_typeIiLj4EES3_PS1_S3_iiS1_i.kd
    .uniform_work_group_size: 1
    .uses_dynamic_stack: false
    .vgpr_count:     60
    .vgpr_spill_count: 0
    .wavefront_size: 32
  - .args:
      - .actual_access:  read_only
        .address_space:  global
        .offset:         0
        .size:           8
        .value_kind:     global_buffer
      - .actual_access:  read_only
        .address_space:  global
        .offset:         8
        .size:           8
        .value_kind:     global_buffer
      - .actual_access:  write_only
        .address_space:  global
        .offset:         16
        .size:           8
        .value_kind:     global_buffer
      - .actual_access:  read_only
        .address_space:  global
        .offset:         24
        .size:           8
        .value_kind:     global_buffer
      - .offset:         32
        .size:           4
        .value_kind:     by_value
      - .offset:         36
        .size:           4
        .value_kind:     by_value
      - .offset:         48
        .size:           16
        .value_kind:     by_value
      - .offset:         64
        .size:           4
        .value_kind:     by_value
      - .offset:         72
        .size:           4
        .value_kind:     hidden_block_count_x
      - .offset:         76
        .size:           4
        .value_kind:     hidden_block_count_y
      - .offset:         80
        .size:           4
        .value_kind:     hidden_block_count_z
      - .offset:         84
        .size:           2
        .value_kind:     hidden_group_size_x
      - .offset:         86
        .size:           2
        .value_kind:     hidden_group_size_y
      - .offset:         88
        .size:           2
        .value_kind:     hidden_group_size_z
      - .offset:         90
        .size:           2
        .value_kind:     hidden_remainder_x
      - .offset:         92
        .size:           2
        .value_kind:     hidden_remainder_y
      - .offset:         94
        .size:           2
        .value_kind:     hidden_remainder_z
      - .offset:         112
        .size:           8
        .value_kind:     hidden_global_offset_x
      - .offset:         120
        .size:           8
        .value_kind:     hidden_global_offset_y
      - .offset:         128
        .size:           8
        .value_kind:     hidden_global_offset_z
      - .offset:         136
        .size:           2
        .value_kind:     hidden_grid_dims
    .group_segment_fixed_size: 4608
    .kernarg_segment_align: 16
    .kernarg_segment_size: 328
    .language:       OpenCL C
    .language_version:
      - 2
      - 0
    .max_flat_workgroup_size: 1024
    .name:           _Z14Code1x16MatVecILj32EEvPK15HIP_vector_typeIiLj4EES3_PS1_S3_iiS1_i
    .private_segment_fixed_size: 32
    .sgpr_count:     19
    .sgpr_spill_count: 0
    .symbol:         _Z14Code1x16MatVecILj32EEvPK15HIP_vector_typeIiLj4EES3_PS1_S3_iiS1_i.kd
    .uniform_work_group_size: 1
    .uses_dynamic_stack: false
    .vgpr_count:     60
    .vgpr_spill_count: 0
    .wavefront_size: 32
amdhsa.target:   amdgcn-amd-amdhsa--gfx1250
amdhsa.version:
  - 1
  - 2
...

	.end_amdgpu_metadata
